;; amdgpu-corpus repo=ROCm/rocm-examples kind=compiled arch=gfx1030 opt=O3
	.amdgcn_target "amdgcn-amd-amdhsa--gfx1030"
	.amdhsa_code_object_version 6
	.section	.text._Z12block_reduceILj32EEvPiPNSt11conditionalIXeqT_Li32EEjmE4typeES0_m,"axG",@progbits,_Z12block_reduceILj32EEvPiPNSt11conditionalIXeqT_Li32EEjmE4typeES0_m,comdat
	.protected	_Z12block_reduceILj32EEvPiPNSt11conditionalIXeqT_Li32EEjmE4typeES0_m ; -- Begin function _Z12block_reduceILj32EEvPiPNSt11conditionalIXeqT_Li32EEjmE4typeES0_m
	.globl	_Z12block_reduceILj32EEvPiPNSt11conditionalIXeqT_Li32EEjmE4typeES0_m
	.p2align	8
	.type	_Z12block_reduceILj32EEvPiPNSt11conditionalIXeqT_Li32EEjmE4typeES0_m,@function
_Z12block_reduceILj32EEvPiPNSt11conditionalIXeqT_Li32EEjmE4typeES0_m: ; @_Z12block_reduceILj32EEvPiPNSt11conditionalIXeqT_Li32EEjmE4typeES0_m
; %bb.0:
	s_clause 0x1
	s_load_dword s0, s[4:5], 0x2c
	s_load_dwordx8 s[8:15], s[4:5], 0x0
	s_mov_b32 s1, exec_lo
	s_waitcnt lgkmcnt(0)
	s_and_b32 s0, s0, 0xffff
	v_mad_u64_u32 v[3:4], null, s6, s0, v[0:1]
	v_mov_b32_e32 v4, 0
	v_mov_b32_e32 v2, v4
	v_cmpx_gt_u64_e64 s[14:15], v[3:4]
	s_cbranch_execz .LBB0_4
; %bb.1:
	v_lshrrev_b32_e32 v1, 5, v0
	s_lshr_b32 s2, s0, 5
	v_mad_u64_u32 v[1:2], null, s2, s6, v[1:2]
	v_mov_b32_e32 v2, 0
	s_mov_b32 s2, exec_lo
	v_lshlrev_b64 v[5:6], 2, v[1:2]
	v_add_co_u32 v5, vcc_lo, s10, v5
	v_add_co_ci_u32_e64 v6, null, s11, v6, vcc_lo
	global_load_dword v1, v[5:6], off
	s_waitcnt vmcnt(0)
	v_lshrrev_b32_e32 v1, v0, v1
	v_and_b32_e32 v1, 1, v1
	v_cmpx_eq_u32_e32 1, v1
	s_cbranch_execz .LBB0_3
; %bb.2:
	v_lshlrev_b64 v[1:2], 2, v[3:4]
	v_add_co_u32 v1, vcc_lo, s8, v1
	v_add_co_ci_u32_e64 v2, null, s9, v2, vcc_lo
	global_load_dword v2, v[1:2], off
.LBB0_3:
	s_or_b32 exec_lo, exec_lo, s2
.LBB0_4:
	s_or_b32 exec_lo, exec_lo, s1
	v_lshl_add_u32 v1, v0, 2, 0
	s_cmp_lt_u32 s0, 64
	s_waitcnt vmcnt(0)
	ds_write_b32 v1, v2
	s_waitcnt lgkmcnt(0)
	s_barrier
	s_branch .LBB0_6
	.p2align	6
.LBB0_5:                                ;   in Loop: Header=BB0_6 Depth=1
	s_or_b32 exec_lo, exec_lo, s2
	s_waitcnt lgkmcnt(0)
	s_barrier
	s_cmpk_lt_u32 s0, 0x80
	s_mov_b32 s0, s1
.LBB0_6:                                ; =>This Inner Loop Header: Depth=1
	buffer_gl0_inv
	s_cbranch_scc1 .LBB0_9
; %bb.7:                                ;   in Loop: Header=BB0_6 Depth=1
	s_lshr_b32 s1, s0, 1
	s_mov_b32 s2, exec_lo
	v_cmpx_gt_u32_e64 s1, v0
	s_cbranch_execz .LBB0_5
; %bb.8:                                ;   in Loop: Header=BB0_6 Depth=1
	v_lshl_add_u32 v2, s1, 2, v1
	ds_read_b32 v3, v1
	ds_read_b32 v2, v2
	s_waitcnt lgkmcnt(0)
	v_add_nc_u32_e32 v2, v2, v3
	ds_write_b32 v1, v2
	s_branch .LBB0_5
.LBB0_9:
	ds_read_b32 v1, v1
	v_mbcnt_lo_u32_b32 v2, -1, 0
	s_waitcnt lgkmcnt(0)
	s_barrier
	buffer_gl0_inv
	s_mov_b32 s0, exec_lo
	v_lshl_or_b32 v3, v2, 2, 64
	v_cmp_gt_u32_e32 vcc_lo, 24, v2
	v_cndmask_b32_e64 v4, 0, 8, vcc_lo
	v_cmp_gt_u32_e32 vcc_lo, 28, v2
	v_add_lshl_u32 v4, v4, v2, 2
	ds_bpermute_b32 v3, v3, v1
	s_waitcnt lgkmcnt(0)
	v_add_nc_u32_e32 v1, v3, v1
	ds_bpermute_b32 v3, v4, v1
	v_cndmask_b32_e64 v4, 0, 4, vcc_lo
	v_cmp_gt_u32_e32 vcc_lo, 30, v2
	v_add_lshl_u32 v4, v4, v2, 2
	s_waitcnt lgkmcnt(0)
	v_add_nc_u32_e32 v1, v3, v1
	ds_bpermute_b32 v3, v4, v1
	v_cndmask_b32_e64 v4, 0, 2, vcc_lo
	v_cmp_ne_u32_e32 vcc_lo, 31, v2
	v_add_lshl_u32 v4, v4, v2, 2
	v_add_co_ci_u32_e64 v2, null, 0, v2, vcc_lo
	v_lshlrev_b32_e32 v2, 2, v2
	s_waitcnt lgkmcnt(0)
	v_add_nc_u32_e32 v1, v3, v1
	ds_bpermute_b32 v3, v4, v1
	s_waitcnt lgkmcnt(0)
	v_add_nc_u32_e32 v1, v3, v1
	ds_bpermute_b32 v2, v2, v1
	v_cmpx_eq_u32_e32 0, v0
	s_cbranch_execz .LBB0_11
; %bb.10:
	s_mov_b32 s7, 0
	s_waitcnt lgkmcnt(0)
	v_add_nc_u32_e32 v0, v2, v1
	s_lshl_b64 s[0:1], s[6:7], 2
	v_mov_b32_e32 v1, 0
	s_add_u32 s0, s12, s0
	s_addc_u32 s1, s13, s1
	global_store_dword v1, v0, s[0:1]
.LBB0_11:
	s_endpgm
	.section	.rodata,"a",@progbits
	.p2align	6, 0x0
	.amdhsa_kernel _Z12block_reduceILj32EEvPiPNSt11conditionalIXeqT_Li32EEjmE4typeES0_m
		.amdhsa_group_segment_fixed_size 0
		.amdhsa_private_segment_fixed_size 0
		.amdhsa_kernarg_size 288
		.amdhsa_user_sgpr_count 6
		.amdhsa_user_sgpr_private_segment_buffer 1
		.amdhsa_user_sgpr_dispatch_ptr 0
		.amdhsa_user_sgpr_queue_ptr 0
		.amdhsa_user_sgpr_kernarg_segment_ptr 1
		.amdhsa_user_sgpr_dispatch_id 0
		.amdhsa_user_sgpr_flat_scratch_init 0
		.amdhsa_user_sgpr_private_segment_size 0
		.amdhsa_wavefront_size32 1
		.amdhsa_uses_dynamic_stack 0
		.amdhsa_system_sgpr_private_segment_wavefront_offset 0
		.amdhsa_system_sgpr_workgroup_id_x 1
		.amdhsa_system_sgpr_workgroup_id_y 0
		.amdhsa_system_sgpr_workgroup_id_z 0
		.amdhsa_system_sgpr_workgroup_info 0
		.amdhsa_system_vgpr_workitem_id 0
		.amdhsa_next_free_vgpr 7
		.amdhsa_next_free_sgpr 16
		.amdhsa_reserve_vcc 1
		.amdhsa_reserve_flat_scratch 0
		.amdhsa_float_round_mode_32 0
		.amdhsa_float_round_mode_16_64 0
		.amdhsa_float_denorm_mode_32 3
		.amdhsa_float_denorm_mode_16_64 3
		.amdhsa_dx10_clamp 1
		.amdhsa_ieee_mode 1
		.amdhsa_fp16_overflow 0
		.amdhsa_workgroup_processor_mode 1
		.amdhsa_memory_ordered 1
		.amdhsa_forward_progress 1
		.amdhsa_shared_vgpr_count 0
		.amdhsa_exception_fp_ieee_invalid_op 0
		.amdhsa_exception_fp_denorm_src 0
		.amdhsa_exception_fp_ieee_div_zero 0
		.amdhsa_exception_fp_ieee_overflow 0
		.amdhsa_exception_fp_ieee_underflow 0
		.amdhsa_exception_fp_ieee_inexact 0
		.amdhsa_exception_int_div_zero 0
	.end_amdhsa_kernel
	.section	.text._Z12block_reduceILj32EEvPiPNSt11conditionalIXeqT_Li32EEjmE4typeES0_m,"axG",@progbits,_Z12block_reduceILj32EEvPiPNSt11conditionalIXeqT_Li32EEjmE4typeES0_m,comdat
.Lfunc_end0:
	.size	_Z12block_reduceILj32EEvPiPNSt11conditionalIXeqT_Li32EEjmE4typeES0_m, .Lfunc_end0-_Z12block_reduceILj32EEvPiPNSt11conditionalIXeqT_Li32EEjmE4typeES0_m
                                        ; -- End function
	.set _Z12block_reduceILj32EEvPiPNSt11conditionalIXeqT_Li32EEjmE4typeES0_m.num_vgpr, 7
	.set _Z12block_reduceILj32EEvPiPNSt11conditionalIXeqT_Li32EEjmE4typeES0_m.num_agpr, 0
	.set _Z12block_reduceILj32EEvPiPNSt11conditionalIXeqT_Li32EEjmE4typeES0_m.numbered_sgpr, 16
	.set _Z12block_reduceILj32EEvPiPNSt11conditionalIXeqT_Li32EEjmE4typeES0_m.num_named_barrier, 0
	.set _Z12block_reduceILj32EEvPiPNSt11conditionalIXeqT_Li32EEjmE4typeES0_m.private_seg_size, 0
	.set _Z12block_reduceILj32EEvPiPNSt11conditionalIXeqT_Li32EEjmE4typeES0_m.uses_vcc, 1
	.set _Z12block_reduceILj32EEvPiPNSt11conditionalIXeqT_Li32EEjmE4typeES0_m.uses_flat_scratch, 0
	.set _Z12block_reduceILj32EEvPiPNSt11conditionalIXeqT_Li32EEjmE4typeES0_m.has_dyn_sized_stack, 0
	.set _Z12block_reduceILj32EEvPiPNSt11conditionalIXeqT_Li32EEjmE4typeES0_m.has_recursion, 0
	.set _Z12block_reduceILj32EEvPiPNSt11conditionalIXeqT_Li32EEjmE4typeES0_m.has_indirect_call, 0
	.section	.AMDGPU.csdata,"",@progbits
; Kernel info:
; codeLenInByte = 592
; TotalNumSgprs: 18
; NumVgprs: 7
; ScratchSize: 0
; MemoryBound: 0
; FloatMode: 240
; IeeeMode: 1
; LDSByteSize: 0 bytes/workgroup (compile time only)
; SGPRBlocks: 0
; VGPRBlocks: 0
; NumSGPRsForWavesPerEU: 18
; NumVGPRsForWavesPerEU: 7
; Occupancy: 16
; WaveLimiterHint : 0
; COMPUTE_PGM_RSRC2:SCRATCH_EN: 0
; COMPUTE_PGM_RSRC2:USER_SGPR: 6
; COMPUTE_PGM_RSRC2:TRAP_HANDLER: 0
; COMPUTE_PGM_RSRC2:TGID_X_EN: 1
; COMPUTE_PGM_RSRC2:TGID_Y_EN: 0
; COMPUTE_PGM_RSRC2:TGID_Z_EN: 0
; COMPUTE_PGM_RSRC2:TIDIG_COMP_CNT: 0
	.section	.text._Z12block_reduceILj64EEvPiPNSt11conditionalIXeqT_Li32EEjmE4typeES0_m,"axG",@progbits,_Z12block_reduceILj64EEvPiPNSt11conditionalIXeqT_Li32EEjmE4typeES0_m,comdat
	.protected	_Z12block_reduceILj64EEvPiPNSt11conditionalIXeqT_Li32EEjmE4typeES0_m ; -- Begin function _Z12block_reduceILj64EEvPiPNSt11conditionalIXeqT_Li32EEjmE4typeES0_m
	.globl	_Z12block_reduceILj64EEvPiPNSt11conditionalIXeqT_Li32EEjmE4typeES0_m
	.p2align	8
	.type	_Z12block_reduceILj64EEvPiPNSt11conditionalIXeqT_Li32EEjmE4typeES0_m,@function
_Z12block_reduceILj64EEvPiPNSt11conditionalIXeqT_Li32EEjmE4typeES0_m: ; @_Z12block_reduceILj64EEvPiPNSt11conditionalIXeqT_Li32EEjmE4typeES0_m
; %bb.0:
	s_clause 0x1
	s_load_dword s0, s[4:5], 0x2c
	s_load_dwordx8 s[8:15], s[4:5], 0x0
	s_mov_b32 s1, exec_lo
	s_waitcnt lgkmcnt(0)
	s_and_b32 s0, s0, 0xffff
	v_mad_u64_u32 v[3:4], null, s6, s0, v[0:1]
	v_mov_b32_e32 v4, 0
	v_mov_b32_e32 v2, v4
	v_cmpx_gt_u64_e64 s[14:15], v[3:4]
	s_cbranch_execz .LBB1_4
; %bb.1:
	v_lshrrev_b32_e32 v1, 6, v0
	s_lshr_b32 s2, s0, 6
	v_mad_u64_u32 v[1:2], null, s2, s6, v[1:2]
	v_mov_b32_e32 v2, 0
	s_mov_b32 s2, exec_lo
	v_lshlrev_b64 v[5:6], 3, v[1:2]
	v_add_co_u32 v5, vcc_lo, s10, v5
	v_add_co_ci_u32_e64 v6, null, s11, v6, vcc_lo
	global_load_dwordx2 v[5:6], v[5:6], off
	s_waitcnt vmcnt(0)
	v_lshrrev_b64 v[5:6], v0, v[5:6]
	v_and_b32_e32 v1, 1, v5
	v_cmpx_eq_u32_e32 1, v1
	s_cbranch_execz .LBB1_3
; %bb.2:
	v_lshlrev_b64 v[1:2], 2, v[3:4]
	v_add_co_u32 v1, vcc_lo, s8, v1
	v_add_co_ci_u32_e64 v2, null, s9, v2, vcc_lo
	global_load_dword v2, v[1:2], off
.LBB1_3:
	s_or_b32 exec_lo, exec_lo, s2
.LBB1_4:
	s_or_b32 exec_lo, exec_lo, s1
	v_lshl_add_u32 v1, v0, 2, 0
	s_cmpk_lt_u32 s0, 0x80
	s_waitcnt vmcnt(0)
	ds_write_b32 v1, v2
	s_waitcnt lgkmcnt(0)
	s_barrier
	s_branch .LBB1_6
	.p2align	6
.LBB1_5:                                ;   in Loop: Header=BB1_6 Depth=1
	s_or_b32 exec_lo, exec_lo, s2
	s_waitcnt lgkmcnt(0)
	s_barrier
	s_cmpk_lt_u32 s0, 0x100
	s_mov_b32 s0, s1
.LBB1_6:                                ; =>This Inner Loop Header: Depth=1
	buffer_gl0_inv
	s_cbranch_scc1 .LBB1_9
; %bb.7:                                ;   in Loop: Header=BB1_6 Depth=1
	s_lshr_b32 s1, s0, 1
	s_mov_b32 s2, exec_lo
	v_cmpx_gt_u32_e64 s1, v0
	s_cbranch_execz .LBB1_5
; %bb.8:                                ;   in Loop: Header=BB1_6 Depth=1
	v_lshl_add_u32 v2, s1, 2, v1
	ds_read_b32 v3, v1
	ds_read_b32 v2, v2
	s_waitcnt lgkmcnt(0)
	v_add_nc_u32_e32 v2, v2, v3
	ds_write_b32 v1, v2
	s_branch .LBB1_5
.LBB1_9:
	ds_read_b32 v1, v1
	v_mbcnt_lo_u32_b32 v2, -1, 0
	s_waitcnt lgkmcnt(0)
	s_barrier
	buffer_gl0_inv
	s_mov_b32 s0, exec_lo
	v_lshlrev_b32_e32 v3, 2, v2
	v_cmp_gt_u32_e32 vcc_lo, 24, v2
	ds_bpermute_b32 v4, v3, v1
	v_or_b32_e32 v3, 64, v3
	s_waitcnt lgkmcnt(0)
	v_add_nc_u32_e32 v1, v4, v1
	v_cndmask_b32_e64 v4, 0, 8, vcc_lo
	v_cmp_gt_u32_e32 vcc_lo, 28, v2
	ds_bpermute_b32 v3, v3, v1
	v_add_lshl_u32 v4, v4, v2, 2
	s_waitcnt lgkmcnt(0)
	v_add_nc_u32_e32 v1, v3, v1
	ds_bpermute_b32 v3, v4, v1
	v_cndmask_b32_e64 v4, 0, 4, vcc_lo
	v_cmp_gt_u32_e32 vcc_lo, 30, v2
	v_add_lshl_u32 v4, v4, v2, 2
	s_waitcnt lgkmcnt(0)
	v_add_nc_u32_e32 v1, v3, v1
	ds_bpermute_b32 v3, v4, v1
	v_cndmask_b32_e64 v4, 0, 2, vcc_lo
	v_cmp_ne_u32_e32 vcc_lo, 31, v2
	v_add_lshl_u32 v4, v4, v2, 2
	v_add_co_ci_u32_e64 v2, null, 0, v2, vcc_lo
	v_lshlrev_b32_e32 v2, 2, v2
	s_waitcnt lgkmcnt(0)
	v_add_nc_u32_e32 v1, v3, v1
	ds_bpermute_b32 v3, v4, v1
	s_waitcnt lgkmcnt(0)
	v_add_nc_u32_e32 v1, v3, v1
	ds_bpermute_b32 v2, v2, v1
	v_cmpx_eq_u32_e32 0, v0
	s_cbranch_execz .LBB1_11
; %bb.10:
	s_mov_b32 s7, 0
	s_waitcnt lgkmcnt(0)
	v_add_nc_u32_e32 v0, v2, v1
	s_lshl_b64 s[0:1], s[6:7], 2
	v_mov_b32_e32 v1, 0
	s_add_u32 s0, s12, s0
	s_addc_u32 s1, s13, s1
	global_store_dword v1, v0, s[0:1]
.LBB1_11:
	s_endpgm
	.section	.rodata,"a",@progbits
	.p2align	6, 0x0
	.amdhsa_kernel _Z12block_reduceILj64EEvPiPNSt11conditionalIXeqT_Li32EEjmE4typeES0_m
		.amdhsa_group_segment_fixed_size 0
		.amdhsa_private_segment_fixed_size 0
		.amdhsa_kernarg_size 288
		.amdhsa_user_sgpr_count 6
		.amdhsa_user_sgpr_private_segment_buffer 1
		.amdhsa_user_sgpr_dispatch_ptr 0
		.amdhsa_user_sgpr_queue_ptr 0
		.amdhsa_user_sgpr_kernarg_segment_ptr 1
		.amdhsa_user_sgpr_dispatch_id 0
		.amdhsa_user_sgpr_flat_scratch_init 0
		.amdhsa_user_sgpr_private_segment_size 0
		.amdhsa_wavefront_size32 1
		.amdhsa_uses_dynamic_stack 0
		.amdhsa_system_sgpr_private_segment_wavefront_offset 0
		.amdhsa_system_sgpr_workgroup_id_x 1
		.amdhsa_system_sgpr_workgroup_id_y 0
		.amdhsa_system_sgpr_workgroup_id_z 0
		.amdhsa_system_sgpr_workgroup_info 0
		.amdhsa_system_vgpr_workitem_id 0
		.amdhsa_next_free_vgpr 7
		.amdhsa_next_free_sgpr 16
		.amdhsa_reserve_vcc 1
		.amdhsa_reserve_flat_scratch 0
		.amdhsa_float_round_mode_32 0
		.amdhsa_float_round_mode_16_64 0
		.amdhsa_float_denorm_mode_32 3
		.amdhsa_float_denorm_mode_16_64 3
		.amdhsa_dx10_clamp 1
		.amdhsa_ieee_mode 1
		.amdhsa_fp16_overflow 0
		.amdhsa_workgroup_processor_mode 1
		.amdhsa_memory_ordered 1
		.amdhsa_forward_progress 1
		.amdhsa_shared_vgpr_count 0
		.amdhsa_exception_fp_ieee_invalid_op 0
		.amdhsa_exception_fp_denorm_src 0
		.amdhsa_exception_fp_ieee_div_zero 0
		.amdhsa_exception_fp_ieee_overflow 0
		.amdhsa_exception_fp_ieee_underflow 0
		.amdhsa_exception_fp_ieee_inexact 0
		.amdhsa_exception_int_div_zero 0
	.end_amdhsa_kernel
	.section	.text._Z12block_reduceILj64EEvPiPNSt11conditionalIXeqT_Li32EEjmE4typeES0_m,"axG",@progbits,_Z12block_reduceILj64EEvPiPNSt11conditionalIXeqT_Li32EEjmE4typeES0_m,comdat
.Lfunc_end1:
	.size	_Z12block_reduceILj64EEvPiPNSt11conditionalIXeqT_Li32EEjmE4typeES0_m, .Lfunc_end1-_Z12block_reduceILj64EEvPiPNSt11conditionalIXeqT_Li32EEjmE4typeES0_m
                                        ; -- End function
	.set _Z12block_reduceILj64EEvPiPNSt11conditionalIXeqT_Li32EEjmE4typeES0_m.num_vgpr, 7
	.set _Z12block_reduceILj64EEvPiPNSt11conditionalIXeqT_Li32EEjmE4typeES0_m.num_agpr, 0
	.set _Z12block_reduceILj64EEvPiPNSt11conditionalIXeqT_Li32EEjmE4typeES0_m.numbered_sgpr, 16
	.set _Z12block_reduceILj64EEvPiPNSt11conditionalIXeqT_Li32EEjmE4typeES0_m.num_named_barrier, 0
	.set _Z12block_reduceILj64EEvPiPNSt11conditionalIXeqT_Li32EEjmE4typeES0_m.private_seg_size, 0
	.set _Z12block_reduceILj64EEvPiPNSt11conditionalIXeqT_Li32EEjmE4typeES0_m.uses_vcc, 1
	.set _Z12block_reduceILj64EEvPiPNSt11conditionalIXeqT_Li32EEjmE4typeES0_m.uses_flat_scratch, 0
	.set _Z12block_reduceILj64EEvPiPNSt11conditionalIXeqT_Li32EEjmE4typeES0_m.has_dyn_sized_stack, 0
	.set _Z12block_reduceILj64EEvPiPNSt11conditionalIXeqT_Li32EEjmE4typeES0_m.has_recursion, 0
	.set _Z12block_reduceILj64EEvPiPNSt11conditionalIXeqT_Li32EEjmE4typeES0_m.has_indirect_call, 0
	.section	.AMDGPU.csdata,"",@progbits
; Kernel info:
; codeLenInByte = 608
; TotalNumSgprs: 18
; NumVgprs: 7
; ScratchSize: 0
; MemoryBound: 0
; FloatMode: 240
; IeeeMode: 1
; LDSByteSize: 0 bytes/workgroup (compile time only)
; SGPRBlocks: 0
; VGPRBlocks: 0
; NumSGPRsForWavesPerEU: 18
; NumVGPRsForWavesPerEU: 7
; Occupancy: 16
; WaveLimiterHint : 0
; COMPUTE_PGM_RSRC2:SCRATCH_EN: 0
; COMPUTE_PGM_RSRC2:USER_SGPR: 6
; COMPUTE_PGM_RSRC2:TRAP_HANDLER: 0
; COMPUTE_PGM_RSRC2:TGID_X_EN: 1
; COMPUTE_PGM_RSRC2:TGID_Y_EN: 0
; COMPUTE_PGM_RSRC2:TGID_Z_EN: 0
; COMPUTE_PGM_RSRC2:TIDIG_COMP_CNT: 0
	.section	.AMDGPU.gpr_maximums,"",@progbits
	.set amdgpu.max_num_vgpr, 0
	.set amdgpu.max_num_agpr, 0
	.set amdgpu.max_num_sgpr, 0
	.section	.AMDGPU.csdata,"",@progbits
	.type	__hip_cuid_22ed2b4b2689908f,@object ; @__hip_cuid_22ed2b4b2689908f
	.section	.bss,"aw",@nobits
	.globl	__hip_cuid_22ed2b4b2689908f
__hip_cuid_22ed2b4b2689908f:
	.byte	0                               ; 0x0
	.size	__hip_cuid_22ed2b4b2689908f, 1

	.ident	"AMD clang version 22.0.0git (https://github.com/RadeonOpenCompute/llvm-project roc-7.2.4 26084 f58b06dce1f9c15707c5f808fd002e18c2accf7e)"
	.section	".note.GNU-stack","",@progbits
	.addrsig
	.addrsig_sym __hip_cuid_22ed2b4b2689908f
	.amdgpu_metadata
---
amdhsa.kernels:
  - .args:
      - .address_space:  global
        .offset:         0
        .size:           8
        .value_kind:     global_buffer
      - .address_space:  global
        .offset:         8
        .size:           8
        .value_kind:     global_buffer
      - .address_space:  global
        .offset:         16
        .size:           8
        .value_kind:     global_buffer
      - .offset:         24
        .size:           8
        .value_kind:     by_value
      - .offset:         32
        .size:           4
        .value_kind:     hidden_block_count_x
      - .offset:         36
        .size:           4
        .value_kind:     hidden_block_count_y
      - .offset:         40
        .size:           4
        .value_kind:     hidden_block_count_z
      - .offset:         44
        .size:           2
        .value_kind:     hidden_group_size_x
      - .offset:         46
        .size:           2
        .value_kind:     hidden_group_size_y
      - .offset:         48
        .size:           2
        .value_kind:     hidden_group_size_z
      - .offset:         50
        .size:           2
        .value_kind:     hidden_remainder_x
      - .offset:         52
        .size:           2
        .value_kind:     hidden_remainder_y
      - .offset:         54
        .size:           2
        .value_kind:     hidden_remainder_z
      - .offset:         72
        .size:           8
        .value_kind:     hidden_global_offset_x
      - .offset:         80
        .size:           8
        .value_kind:     hidden_global_offset_y
      - .offset:         88
        .size:           8
        .value_kind:     hidden_global_offset_z
      - .offset:         96
        .size:           2
        .value_kind:     hidden_grid_dims
      - .offset:         152
        .size:           4
        .value_kind:     hidden_dynamic_lds_size
    .group_segment_fixed_size: 0
    .kernarg_segment_align: 8
    .kernarg_segment_size: 288
    .language:       OpenCL C
    .language_version:
      - 2
      - 0
    .max_flat_workgroup_size: 1024
    .name:           _Z12block_reduceILj32EEvPiPNSt11conditionalIXeqT_Li32EEjmE4typeES0_m
    .private_segment_fixed_size: 0
    .sgpr_count:     18
    .sgpr_spill_count: 0
    .symbol:         _Z12block_reduceILj32EEvPiPNSt11conditionalIXeqT_Li32EEjmE4typeES0_m.kd
    .uniform_work_group_size: 1
    .uses_dynamic_stack: false
    .vgpr_count:     7
    .vgpr_spill_count: 0
    .wavefront_size: 32
    .workgroup_processor_mode: 1
  - .args:
      - .address_space:  global
        .offset:         0
        .size:           8
        .value_kind:     global_buffer
      - .address_space:  global
        .offset:         8
        .size:           8
        .value_kind:     global_buffer
      - .address_space:  global
        .offset:         16
        .size:           8
        .value_kind:     global_buffer
      - .offset:         24
        .size:           8
        .value_kind:     by_value
      - .offset:         32
        .size:           4
        .value_kind:     hidden_block_count_x
      - .offset:         36
        .size:           4
        .value_kind:     hidden_block_count_y
      - .offset:         40
        .size:           4
        .value_kind:     hidden_block_count_z
      - .offset:         44
        .size:           2
        .value_kind:     hidden_group_size_x
      - .offset:         46
        .size:           2
        .value_kind:     hidden_group_size_y
      - .offset:         48
        .size:           2
        .value_kind:     hidden_group_size_z
      - .offset:         50
        .size:           2
        .value_kind:     hidden_remainder_x
      - .offset:         52
        .size:           2
        .value_kind:     hidden_remainder_y
      - .offset:         54
        .size:           2
        .value_kind:     hidden_remainder_z
      - .offset:         72
        .size:           8
        .value_kind:     hidden_global_offset_x
      - .offset:         80
        .size:           8
        .value_kind:     hidden_global_offset_y
      - .offset:         88
        .size:           8
        .value_kind:     hidden_global_offset_z
      - .offset:         96
        .size:           2
        .value_kind:     hidden_grid_dims
      - .offset:         152
        .size:           4
        .value_kind:     hidden_dynamic_lds_size
    .group_segment_fixed_size: 0
    .kernarg_segment_align: 8
    .kernarg_segment_size: 288
    .language:       OpenCL C
    .language_version:
      - 2
      - 0
    .max_flat_workgroup_size: 1024
    .name:           _Z12block_reduceILj64EEvPiPNSt11conditionalIXeqT_Li32EEjmE4typeES0_m
    .private_segment_fixed_size: 0
    .sgpr_count:     18
    .sgpr_spill_count: 0
    .symbol:         _Z12block_reduceILj64EEvPiPNSt11conditionalIXeqT_Li32EEjmE4typeES0_m.kd
    .uniform_work_group_size: 1
    .uses_dynamic_stack: false
    .vgpr_count:     7
    .vgpr_spill_count: 0
    .wavefront_size: 32
    .workgroup_processor_mode: 1
amdhsa.target:   amdgcn-amd-amdhsa--gfx1030
amdhsa.version:
  - 1
  - 2
...

	.end_amdgpu_metadata
